;; amdgpu-corpus repo=ROCm/rocFFT kind=compiled arch=gfx1030 opt=O3
	.text
	.amdgcn_target "amdgcn-amd-amdhsa--gfx1030"
	.amdhsa_code_object_version 6
	.protected	fft_rtc_fwd_len84_factors_7_2_6_wgs_336_tpt_14_dp_ip_CI_sbcc_twdbase8_2step_dirReg_intrinsicRead ; -- Begin function fft_rtc_fwd_len84_factors_7_2_6_wgs_336_tpt_14_dp_ip_CI_sbcc_twdbase8_2step_dirReg_intrinsicRead
	.globl	fft_rtc_fwd_len84_factors_7_2_6_wgs_336_tpt_14_dp_ip_CI_sbcc_twdbase8_2step_dirReg_intrinsicRead
	.p2align	8
	.type	fft_rtc_fwd_len84_factors_7_2_6_wgs_336_tpt_14_dp_ip_CI_sbcc_twdbase8_2step_dirReg_intrinsicRead,@function
fft_rtc_fwd_len84_factors_7_2_6_wgs_336_tpt_14_dp_ip_CI_sbcc_twdbase8_2step_dirReg_intrinsicRead: ; @fft_rtc_fwd_len84_factors_7_2_6_wgs_336_tpt_14_dp_ip_CI_sbcc_twdbase8_2step_dirReg_intrinsicRead
; %bb.0:
	s_load_dwordx4 s[0:3], s[4:5], 0x18
	s_mov_b64 s[22:23], 0
	s_waitcnt lgkmcnt(0)
	s_load_dwordx2 s[18:19], s[0:1], 0x8
	s_waitcnt lgkmcnt(0)
	s_add_u32 s7, s18, -1
	s_addc_u32 s8, s19, -1
	s_add_u32 s9, 0, 0xaaaa0000
	s_addc_u32 s10, 0, 42
	s_mul_hi_u32 s12, s9, 0xffffffe8
	s_add_i32 s10, s10, 0xaaaaa80
	s_sub_i32 s12, s12, s9
	s_mul_i32 s14, s10, 0xffffffe8
	s_mul_i32 s11, s9, 0xffffffe8
	s_add_i32 s12, s12, s14
	s_mul_hi_u32 s13, s9, s11
	s_mul_i32 s16, s9, s12
	s_mul_hi_u32 s14, s9, s12
	s_mul_hi_u32 s15, s10, s11
	s_mul_i32 s11, s10, s11
	s_add_u32 s13, s13, s16
	s_addc_u32 s14, 0, s14
	s_mul_hi_u32 s17, s10, s12
	s_add_u32 s11, s13, s11
	s_mul_i32 s12, s10, s12
	s_addc_u32 s11, s14, s15
	s_addc_u32 s13, s17, 0
	s_add_u32 s11, s11, s12
	v_add_co_u32 v1, s9, s9, s11
	s_addc_u32 s11, 0, s13
	s_cmp_lg_u32 s9, 0
	s_addc_u32 s9, s10, s11
	v_readfirstlane_b32 s10, v1
	s_mul_i32 s12, s7, s9
	s_mul_hi_u32 s11, s7, s9
	s_mul_hi_u32 s13, s8, s9
	s_mul_i32 s9, s8, s9
	s_mul_hi_u32 s14, s7, s10
	s_mul_hi_u32 s15, s8, s10
	s_mul_i32 s10, s8, s10
	s_add_u32 s12, s14, s12
	s_addc_u32 s11, 0, s11
	s_add_u32 s10, s12, s10
	s_addc_u32 s10, s11, s15
	s_addc_u32 s11, s13, 0
	s_add_u32 s9, s10, s9
	s_addc_u32 s10, 0, s11
	s_mul_i32 s12, s9, 24
	s_add_u32 s11, s9, 1
	v_sub_co_u32 v1, s7, s7, s12
	s_mul_hi_u32 s12, s9, 24
	s_addc_u32 s13, s10, 0
	s_mul_i32 s14, s10, 24
	v_sub_co_u32 v2, s15, v1, 24
	s_add_u32 s16, s9, 2
	s_addc_u32 s17, s10, 0
	s_add_i32 s12, s12, s14
	s_cmp_lg_u32 s7, 0
	v_readfirstlane_b32 s7, v2
	s_subb_u32 s8, s8, s12
	s_cmp_lg_u32 s15, 0
	s_subb_u32 s12, s8, 0
	s_cmp_gt_u32 s7, 23
	s_cselect_b32 s7, -1, 0
	s_cmp_eq_u32 s12, 0
	v_readfirstlane_b32 s12, v1
	s_cselect_b32 s7, s7, -1
	s_cmp_lg_u32 s7, 0
	s_cselect_b32 s11, s16, s11
	s_cselect_b32 s13, s17, s13
	s_cmp_gt_u32 s12, 23
	s_cselect_b32 s7, -1, 0
	s_cmp_eq_u32 s8, 0
	s_cselect_b32 s7, s7, -1
	s_cmp_lg_u32 s7, 0
	s_mov_b32 s7, 0
	s_cselect_b32 s8, s11, s9
	s_cselect_b32 s9, s13, s10
	s_add_u32 s20, s8, 1
	s_addc_u32 s21, s9, 0
	v_cmp_lt_u64_e64 s8, s[6:7], s[20:21]
	s_and_b32 vcc_lo, exec_lo, s8
	s_cbranch_vccnz .LBB0_2
; %bb.1:
	v_cvt_f32_u32_e32 v1, s20
	s_sub_i32 s9, 0, s20
	s_mov_b32 s23, s7
	v_rcp_iflag_f32_e32 v1, v1
	v_mul_f32_e32 v1, 0x4f7ffffe, v1
	v_cvt_u32_f32_e32 v1, v1
	v_readfirstlane_b32 s8, v1
	s_mul_i32 s9, s9, s8
	s_mul_hi_u32 s9, s8, s9
	s_add_i32 s8, s8, s9
	s_mul_hi_u32 s8, s6, s8
	s_mul_i32 s9, s8, s20
	s_add_i32 s10, s8, 1
	s_sub_i32 s9, s6, s9
	s_sub_i32 s11, s9, s20
	s_cmp_ge_u32 s9, s20
	s_cselect_b32 s8, s10, s8
	s_cselect_b32 s9, s11, s9
	s_add_i32 s10, s8, 1
	s_cmp_ge_u32 s9, s20
	s_cselect_b32 s22, s10, s8
.LBB0_2:
	s_load_dwordx4 s[12:15], s[2:3], 0x0
	s_clause 0x2
	s_load_dwordx4 s[8:11], s[4:5], 0x8
	s_load_dwordx2 s[16:17], s[4:5], 0x0
	s_load_dwordx2 s[4:5], s[4:5], 0x58
	s_mul_i32 s24, s22, s21
	s_mul_hi_u32 s25, s22, s20
	s_mul_i32 s26, s22, s20
	s_add_i32 s25, s25, s24
	s_sub_u32 s36, s6, s26
	s_subb_u32 s24, 0, s25
	s_mul_hi_u32 s33, s36, 24
	s_mul_i32 s24, s24, 24
	s_mul_i32 s36, s36, 24
	s_add_i32 s33, s33, s24
	s_waitcnt lgkmcnt(0)
	s_mul_i32 s24, s14, s33
	v_cmp_lt_u64_e64 s26, s[10:11], 3
	s_mul_hi_u32 s25, s14, s36
	s_mul_i32 s38, s14, s36
	s_add_i32 s24, s25, s24
	s_mul_i32 s25, s15, s36
	s_add_i32 s37, s24, s25
	s_and_b32 vcc_lo, exec_lo, s26
	s_cbranch_vccnz .LBB0_12
; %bb.3:
	s_add_u32 s24, s2, 16
	s_addc_u32 s25, s3, 0
	s_add_u32 s0, s0, 16
	s_addc_u32 s1, s1, 0
	s_mov_b64 s[26:27], 2
	s_mov_b32 s28, 0
.LBB0_4:                                ; =>This Inner Loop Header: Depth=1
	s_load_dwordx2 s[30:31], s[0:1], 0x0
	s_waitcnt lgkmcnt(0)
	s_or_b64 s[34:35], s[22:23], s[30:31]
	s_mov_b32 s29, s35
                                        ; implicit-def: $sgpr34_sgpr35
	s_cmp_lg_u64 s[28:29], 0
	s_mov_b32 s29, -1
	s_cbranch_scc0 .LBB0_6
; %bb.5:                                ;   in Loop: Header=BB0_4 Depth=1
	v_cvt_f32_u32_e32 v1, s30
	v_cvt_f32_u32_e32 v2, s31
	s_sub_u32 s35, 0, s30
	s_subb_u32 s39, 0, s31
	v_fmac_f32_e32 v1, 0x4f800000, v2
	v_rcp_f32_e32 v1, v1
	v_mul_f32_e32 v1, 0x5f7ffffc, v1
	v_mul_f32_e32 v2, 0x2f800000, v1
	v_trunc_f32_e32 v2, v2
	v_fmac_f32_e32 v1, 0xcf800000, v2
	v_cvt_u32_f32_e32 v2, v2
	v_cvt_u32_f32_e32 v1, v1
	v_readfirstlane_b32 s29, v2
	v_readfirstlane_b32 s34, v1
	s_mul_i32 s40, s35, s29
	s_mul_hi_u32 s42, s35, s34
	s_mul_i32 s41, s39, s34
	s_add_i32 s40, s42, s40
	s_mul_i32 s43, s35, s34
	s_add_i32 s40, s40, s41
	s_mul_hi_u32 s42, s34, s43
	s_mul_hi_u32 s44, s29, s43
	s_mul_i32 s41, s29, s43
	s_mul_hi_u32 s43, s34, s40
	s_mul_i32 s34, s34, s40
	s_mul_hi_u32 s45, s29, s40
	s_add_u32 s34, s42, s34
	s_addc_u32 s42, 0, s43
	s_add_u32 s34, s34, s41
	s_mul_i32 s40, s29, s40
	s_addc_u32 s34, s42, s44
	s_addc_u32 s41, s45, 0
	s_add_u32 s34, s34, s40
	s_addc_u32 s40, 0, s41
	v_add_co_u32 v1, s34, v1, s34
	s_cmp_lg_u32 s34, 0
	s_addc_u32 s29, s29, s40
	v_readfirstlane_b32 s34, v1
	s_mul_i32 s40, s35, s29
	s_mul_hi_u32 s41, s35, s34
	s_mul_i32 s39, s39, s34
	s_add_i32 s40, s41, s40
	s_mul_i32 s35, s35, s34
	s_add_i32 s40, s40, s39
	s_mul_hi_u32 s41, s29, s35
	s_mul_i32 s42, s29, s35
	s_mul_hi_u32 s35, s34, s35
	s_mul_hi_u32 s43, s34, s40
	s_mul_i32 s34, s34, s40
	s_mul_hi_u32 s39, s29, s40
	s_add_u32 s34, s35, s34
	s_addc_u32 s35, 0, s43
	s_add_u32 s34, s34, s42
	s_mul_i32 s40, s29, s40
	s_addc_u32 s34, s35, s41
	s_addc_u32 s35, s39, 0
	s_add_u32 s34, s34, s40
	s_addc_u32 s35, 0, s35
	v_add_co_u32 v1, s34, v1, s34
	s_cmp_lg_u32 s34, 0
	s_addc_u32 s29, s29, s35
	v_readfirstlane_b32 s34, v1
	s_mul_i32 s39, s22, s29
	s_mul_hi_u32 s35, s22, s29
	s_mul_hi_u32 s40, s23, s29
	s_mul_i32 s29, s23, s29
	s_mul_hi_u32 s41, s22, s34
	s_mul_hi_u32 s42, s23, s34
	s_mul_i32 s34, s23, s34
	s_add_u32 s39, s41, s39
	s_addc_u32 s35, 0, s35
	s_add_u32 s34, s39, s34
	s_addc_u32 s34, s35, s42
	s_addc_u32 s35, s40, 0
	s_add_u32 s34, s34, s29
	s_addc_u32 s35, 0, s35
	s_mul_hi_u32 s29, s30, s34
	s_mul_i32 s40, s30, s35
	s_mul_i32 s41, s30, s34
	s_add_i32 s29, s29, s40
	v_sub_co_u32 v1, s40, s22, s41
	s_mul_i32 s39, s31, s34
	s_add_i32 s29, s29, s39
	v_sub_co_u32 v2, s41, v1, s30
	s_sub_i32 s39, s23, s29
	s_cmp_lg_u32 s40, 0
	s_subb_u32 s39, s39, s31
	s_cmp_lg_u32 s41, 0
	v_readfirstlane_b32 s41, v2
	s_subb_u32 s39, s39, 0
	s_cmp_ge_u32 s39, s31
	s_cselect_b32 s42, -1, 0
	s_cmp_ge_u32 s41, s30
	s_cselect_b32 s41, -1, 0
	s_cmp_eq_u32 s39, s31
	s_cselect_b32 s39, s41, s42
	s_add_u32 s41, s34, 1
	s_addc_u32 s42, s35, 0
	s_add_u32 s43, s34, 2
	s_addc_u32 s44, s35, 0
	s_cmp_lg_u32 s39, 0
	s_cselect_b32 s39, s43, s41
	s_cselect_b32 s41, s44, s42
	s_cmp_lg_u32 s40, 0
	v_readfirstlane_b32 s40, v1
	s_subb_u32 s29, s23, s29
	s_cmp_ge_u32 s29, s31
	s_cselect_b32 s42, -1, 0
	s_cmp_ge_u32 s40, s30
	s_cselect_b32 s40, -1, 0
	s_cmp_eq_u32 s29, s31
	s_cselect_b32 s29, s40, s42
	s_cmp_lg_u32 s29, 0
	s_mov_b32 s29, 0
	s_cselect_b32 s35, s41, s35
	s_cselect_b32 s34, s39, s34
.LBB0_6:                                ;   in Loop: Header=BB0_4 Depth=1
	s_andn2_b32 vcc_lo, exec_lo, s29
	s_cbranch_vccnz .LBB0_8
; %bb.7:                                ;   in Loop: Header=BB0_4 Depth=1
	v_cvt_f32_u32_e32 v1, s30
	s_sub_i32 s34, 0, s30
	v_rcp_iflag_f32_e32 v1, v1
	v_mul_f32_e32 v1, 0x4f7ffffe, v1
	v_cvt_u32_f32_e32 v1, v1
	v_readfirstlane_b32 s29, v1
	s_mul_i32 s34, s34, s29
	s_mul_hi_u32 s34, s29, s34
	s_add_i32 s29, s29, s34
	s_mul_hi_u32 s29, s22, s29
	s_mul_i32 s34, s29, s30
	s_add_i32 s35, s29, 1
	s_sub_i32 s34, s22, s34
	s_sub_i32 s39, s34, s30
	s_cmp_ge_u32 s34, s30
	s_cselect_b32 s29, s35, s29
	s_cselect_b32 s34, s39, s34
	s_add_i32 s35, s29, 1
	s_cmp_ge_u32 s34, s30
	s_cselect_b32 s34, s35, s29
	s_mov_b32 s35, s28
.LBB0_8:                                ;   in Loop: Header=BB0_4 Depth=1
	s_load_dwordx2 s[40:41], s[24:25], 0x0
	s_mul_i32 s21, s30, s21
	s_mul_hi_u32 s29, s30, s20
	s_mul_i32 s39, s31, s20
	s_mul_i32 s31, s34, s31
	s_mul_hi_u32 s42, s34, s30
	s_mul_i32 s43, s35, s30
	s_add_i32 s21, s29, s21
	s_add_i32 s29, s42, s31
	s_mul_i32 s44, s34, s30
	s_add_i32 s21, s21, s39
	s_add_i32 s29, s29, s43
	s_sub_u32 s22, s22, s44
	s_subb_u32 s23, s23, s29
	s_mul_i32 s20, s30, s20
	s_waitcnt lgkmcnt(0)
	s_mul_i32 s23, s40, s23
	s_mul_hi_u32 s29, s40, s22
	s_add_i32 s23, s29, s23
	s_mul_i32 s29, s41, s22
	s_mul_i32 s22, s40, s22
	s_add_i32 s23, s23, s29
	s_add_u32 s38, s22, s38
	s_addc_u32 s37, s23, s37
	s_add_u32 s26, s26, 1
	s_addc_u32 s27, s27, 0
	s_add_u32 s24, s24, 8
	v_cmp_ge_u64_e64 s22, s[26:27], s[10:11]
	s_addc_u32 s25, s25, 0
	s_add_u32 s0, s0, 8
	s_addc_u32 s1, s1, 0
	s_and_b32 vcc_lo, exec_lo, s22
	s_cbranch_vccnz .LBB0_10
; %bb.9:                                ;   in Loop: Header=BB0_4 Depth=1
	s_mov_b64 s[22:23], s[34:35]
	s_branch .LBB0_4
.LBB0_10:
	v_cmp_lt_u64_e64 s0, s[6:7], s[20:21]
	s_mov_b64 s[22:23], 0
	s_and_b32 vcc_lo, exec_lo, s0
	s_cbranch_vccnz .LBB0_12
; %bb.11:
	v_cvt_f32_u32_e32 v1, s20
	s_sub_i32 s1, 0, s20
	v_rcp_iflag_f32_e32 v1, v1
	v_mul_f32_e32 v1, 0x4f7ffffe, v1
	v_cvt_u32_f32_e32 v1, v1
	v_readfirstlane_b32 s0, v1
	s_mul_i32 s1, s1, s0
	s_mul_hi_u32 s1, s0, s1
	s_add_i32 s0, s0, s1
	s_mul_hi_u32 s0, s6, s0
	s_mul_i32 s1, s0, s20
	s_sub_i32 s1, s6, s1
	s_add_i32 s6, s0, 1
	s_sub_i32 s7, s1, s20
	s_cmp_ge_u32 s1, s20
	s_cselect_b32 s0, s6, s0
	s_cselect_b32 s1, s7, s1
	s_add_i32 s6, s0, 1
	s_cmp_ge_u32 s1, s20
	s_cselect_b32 s22, s6, s0
.LBB0_12:
	v_mul_u32_u24_e32 v1, 0xaab, v0
	s_lshl_b64 s[0:1], s[10:11], 3
	s_mov_b32 s7, 0x31014000
	s_add_u32 s0, s2, s0
	s_addc_u32 s1, s3, s1
	v_lshrrev_b32_e32 v33, 16, v1
	s_load_dwordx2 s[2:3], s[0:1], 0x0
	v_cmp_gt_u32_e64 s1, 0x120, v0
	v_cmp_lt_u32_e64 s0, 0x11f, v0
	s_mov_b32 s6, -2
	v_mul_lo_u16 v1, v33, 24
	v_add_nc_u32_e32 v5, 24, v33
	v_cndmask_b32_e64 v2, 0, 1, s1
	v_add_nc_u32_e32 v4, 12, v33
	v_add_nc_u32_e32 v6, 36, v33
	v_sub_nc_u16 v1, v0, v1
	v_add_nc_u32_e32 v7, 48, v33
	v_add_nc_u32_e32 v9, 0x48, v33
	v_mul_lo_u32 v3, s12, v33
	v_mul_lo_u32 v5, s12, v5
	v_and_b32_e32 v32, 0xffff, v1
	v_add_nc_u32_e32 v1, 60, v33
	v_mul_lo_u32 v4, s12, v4
	v_mul_lo_u32 v6, s12, v6
	;; [unrolled: 1-line block ×3, first 2 shown]
	v_add_co_u32 v29, s11, s36, v32
	s_waitcnt lgkmcnt(0)
	s_mul_i32 s3, s3, s22
	s_mul_hi_u32 s10, s2, s22
	v_add_co_ci_u32_e64 v30, null, s33, 0, s11
	s_mul_i32 s2, s2, s22
	s_add_i32 s10, s10, s3
	s_add_u32 s2, s2, s38
	s_addc_u32 s3, s10, s37
	s_add_u32 s10, s36, 24
	v_cmp_gt_u64_e32 vcc_lo, s[18:19], v[29:30]
	s_addc_u32 s11, s33, 0
	v_mad_u64_u32 v[30:31], null, s14, v32, 0
	v_cmp_le_u64_e64 s10, s[10:11], s[18:19]
	v_mul_lo_u32 v1, s12, v1
	v_cndmask_b32_e64 v8, 0, 1, vcc_lo
	s_lshl_b32 s11, s2, 4
	v_lshlrev_b32_e32 v34, 4, v32
	s_or_b32 s0, s0, s10
	v_add_lshl_u32 v3, v30, v3, 4
	v_cndmask_b32_e64 v2, v8, v2, s0
	v_mul_lo_u32 v8, s12, v9
	v_add_lshl_u32 v9, v30, v5, 4
	v_add_lshl_u32 v4, v30, v4, 4
	;; [unrolled: 1-line block ×3, first 2 shown]
	v_and_b32_e32 v2, 1, v2
	v_add_lshl_u32 v11, v30, v7, 4
	v_add_lshl_u32 v12, v30, v1, 4
	;; [unrolled: 1-line block ×3, first 2 shown]
	v_cmp_eq_u32_e64 s0, 1, v2
	v_cndmask_b32_e64 v2, -1, v3, s0
	v_cndmask_b32_e64 v9, -1, v9, s0
	v_cndmask_b32_e64 v5, -1, v4, s0
	v_cndmask_b32_e64 v14, -1, v10, s0
	v_cndmask_b32_e64 v17, -1, v11, s0
	v_cndmask_b32_e64 v18, -1, v12, s0
	v_cndmask_b32_e64 v19, -1, v13, s0
	s_clause 0x6
	buffer_load_dwordx4 v[1:4], v2, s[4:7], s11 offen
	buffer_load_dwordx4 v[5:8], v5, s[4:7], s11 offen
	;; [unrolled: 1-line block ×7, first 2 shown]
	s_and_saveexec_b32 s0, s1
	s_cbranch_execz .LBB0_14
; %bb.13:
	s_waitcnt vmcnt(0)
	v_add_f64 v[35:36], v[7:8], v[19:20]
	v_add_f64 v[37:38], v[11:12], v[27:28]
	;; [unrolled: 1-line block ×4, first 2 shown]
	v_add_f64 v[43:44], v[21:22], -v[13:14]
	v_add_f64 v[9:10], v[9:10], -v[25:26]
	v_add_f64 v[25:26], v[15:16], v[23:24]
	v_add_f64 v[15:16], v[23:24], -v[15:16]
	v_add_f64 v[11:12], v[11:12], -v[27:28]
	v_add_f64 v[13:14], v[13:14], v[21:22]
	v_add_f64 v[5:6], v[5:6], -v[17:18]
	v_add_f64 v[7:8], v[7:8], -v[19:20]
	s_mov_b32 s6, 0xe976ee23
	s_mov_b32 s7, 0xbfe11646
	;; [unrolled: 1-line block ×10, first 2 shown]
	v_add_f64 v[17:18], v[37:38], v[35:36]
	v_add_f64 v[19:20], v[41:42], v[39:40]
	v_add_f64 v[21:22], v[43:44], -v[9:10]
	v_add_f64 v[23:24], v[35:36], -v[25:26]
	;; [unrolled: 1-line block ×8, first 2 shown]
	v_add_f64 v[9:10], v[43:44], v[9:10]
	v_add_f64 v[43:44], v[7:8], -v[15:16]
	v_add_f64 v[11:12], v[15:16], v[11:12]
	v_add_f64 v[17:18], v[25:26], v[17:18]
	v_add_f64 v[25:26], v[25:26], -v[37:38]
	v_add_f64 v[19:20], v[13:14], v[19:20]
	v_add_f64 v[13:14], v[13:14], -v[41:42]
	v_mul_f64 v[21:22], v[21:22], s[6:7]
	v_mul_f64 v[23:24], v[23:24], s[18:19]
	v_add_f64 v[37:38], v[41:42], -v[39:40]
	v_mul_f64 v[27:28], v[27:28], s[6:7]
	s_mov_b32 s6, 0x36b3c0b5
	v_mul_f64 v[39:40], v[45:46], s[18:19]
	s_mov_b32 s7, 0x3fac98ee
	v_mul_f64 v[41:42], v[47:48], s[20:21]
	v_mul_f64 v[45:46], v[49:50], s[20:21]
	s_mov_b32 s19, 0x3fd5d0dc
	s_mov_b32 s18, 0xb247c609
	v_add_f64 v[5:6], v[9:10], v[5:6]
	v_add_f64 v[7:8], v[11:12], v[7:8]
	;; [unrolled: 1-line block ×3, first 2 shown]
	v_mul_f64 v[15:16], v[25:26], s[6:7]
	v_add_f64 v[1:2], v[1:2], v[19:20]
	v_mul_f64 v[53:54], v[13:14], s[6:7]
	v_fma_f64 v[9:10], v[51:52], s[18:19], v[21:22]
	v_fma_f64 v[25:26], v[25:26], s[6:7], v[23:24]
	v_fma_f64 v[23:24], v[35:36], s[24:25], -v[23:24]
	v_fma_f64 v[55:56], v[43:44], s[18:19], v[27:28]
	s_mov_b32 s19, 0xbfd5d0dc
	v_fma_f64 v[57:58], v[37:38], s[24:25], -v[39:40]
	s_mov_b32 s25, 0x3fe77f67
	v_fma_f64 v[13:14], v[13:14], s[6:7], v[39:40]
	v_fma_f64 v[21:22], v[47:48], s[20:21], -v[21:22]
	v_fma_f64 v[41:42], v[51:52], s[18:19], -v[41:42]
	s_mov_b32 s6, 0x37c3f68c
	s_mov_b32 s7, 0x3fdc38aa
	v_fma_f64 v[17:18], v[17:18], s[22:23], v[3:4]
	v_fma_f64 v[11:12], v[35:36], s[24:25], -v[15:16]
	v_fma_f64 v[19:20], v[19:20], s[22:23], v[1:2]
	v_fma_f64 v[15:16], v[49:50], s[20:21], -v[27:28]
	v_fma_f64 v[27:28], v[43:44], s[18:19], -v[45:46]
	;; [unrolled: 1-line block ×3, first 2 shown]
	v_fma_f64 v[9:10], v[5:6], s[6:7], v[9:10]
	v_fma_f64 v[37:38], v[7:8], s[6:7], v[55:56]
	;; [unrolled: 1-line block ×4, first 2 shown]
	v_add_f64 v[25:26], v[25:26], v[17:18]
	v_add_f64 v[23:24], v[23:24], v[17:18]
	;; [unrolled: 1-line block ×4, first 2 shown]
	v_fma_f64 v[41:42], v[7:8], s[6:7], v[27:28]
	v_add_f64 v[45:46], v[57:58], v[19:20]
	v_fma_f64 v[39:40], v[7:8], s[6:7], v[15:16]
	v_add_f64 v[13:14], v[35:36], v[19:20]
	v_mul_u32_u24_e32 v35, 0xa80, v33
	v_add3_u32 v35, 0, v35, v34
	v_add_f64 v[7:8], v[9:10], v[25:26]
	v_add_f64 v[27:28], v[25:26], -v[9:10]
	v_add_f64 v[25:26], v[37:38], v[43:44]
	v_add_f64 v[11:12], v[5:6], v[23:24]
	v_add_f64 v[15:16], v[17:18], -v[21:22]
	v_add_f64 v[19:20], v[21:22], v[17:18]
	v_add_f64 v[23:24], v[23:24], -v[5:6]
	;; [unrolled: 2-line block ×4, first 2 shown]
	v_add_f64 v[5:6], v[43:44], -v[37:38]
	ds_write_b128 v35, v[1:4]
	ds_write_b128 v35, v[25:28] offset:384
	ds_write_b128 v35, v[21:24] offset:768
	;; [unrolled: 1-line block ×6, first 2 shown]
.LBB0_14:
	s_or_b32 exec_lo, exec_lo, s0
	s_waitcnt vmcnt(6)
	v_mad_u16 v1, v33, 37, 0x206
	v_mad_u16 v2, v33, 37, 0x40c
	s_waitcnt vmcnt(3)
	v_mov_b32_e32 v13, 4
	s_waitcnt vmcnt(0) lgkmcnt(0)
	s_barrier
	v_lshrrev_b16 v12, 8, v1
	v_lshrrev_b16 v14, 8, v2
	v_mul_lo_u16 v1, v33, 37
	buffer_gl0_inv
	s_or_b32 s0, s10, vcc_lo
	v_mul_lo_u16 v2, v12, 7
	v_mul_lo_u16 v3, v14, 7
	v_lshrrev_b16 v28, 8, v1
	v_and_b32_e32 v12, 0xffff, v12
	v_sub_nc_u16 v2, v33, v2
	v_sub_nc_u16 v3, v33, v3
	v_mul_lo_u16 v4, v28, 7
	v_add_nc_u16 v2, v2, 14
	v_add_nc_u16 v3, v3, 28
	v_sub_nc_u16 v55, v33, v4
	v_and_b32_e32 v56, 0xff, v2
	v_and_b32_e32 v57, 0xff, v3
	v_lshlrev_b32_sdwa v2, v13, v55 dst_sel:DWORD dst_unused:UNUSED_PAD src0_sel:DWORD src1_sel:BYTE_0
	v_lshlrev_b32_e32 v6, 4, v56
	v_lshlrev_b32_e32 v10, 4, v57
	v_mad_u32_u24 v12, v12, 14, v56
	s_clause 0x2
	global_load_dwordx4 v[2:5], v2, s[16:17]
	global_load_dwordx4 v[6:9], v6, s[16:17]
	;; [unrolled: 1-line block ×3, first 2 shown]
	v_mul_u32_u24_e32 v10, 0x180, v33
	v_mul_u32_u24_e32 v12, 0x180, v12
	v_add3_u32 v15, 0, v10, v34
	ds_read_b128 v[20:23], v15 offset:16128
	ds_read_b128 v[24:27], v15 offset:21504
	;; [unrolled: 1-line block ×4, first 2 shown]
	v_add3_u32 v12, 0, v12, v34
	s_waitcnt vmcnt(2) lgkmcnt(3)
	v_mul_f64 v[47:48], v[22:23], v[4:5]
	v_mul_f64 v[4:5], v[20:21], v[4:5]
	s_waitcnt vmcnt(1) lgkmcnt(2)
	v_mul_f64 v[49:50], v[26:27], v[8:9]
	v_mul_f64 v[51:52], v[24:25], v[8:9]
	;; [unrolled: 3-line block ×3, first 2 shown]
	ds_read_b128 v[8:11], v15
	ds_read_b128 v[43:46], v15 offset:5376
	s_waitcnt lgkmcnt(0)
	s_barrier
	buffer_gl0_inv
	v_fma_f64 v[20:21], v[20:21], v[2:3], -v[47:48]
	v_fma_f64 v[4:5], v[22:23], v[2:3], v[4:5]
	v_fma_f64 v[22:23], v[24:25], v[6:7], -v[49:50]
	v_fma_f64 v[6:7], v[26:27], v[6:7], v[51:52]
	;; [unrolled: 2-line block ×3, first 2 shown]
	v_mov_b32_e32 v47, 0x180
	v_add_f64 v[2:3], v[8:9], -v[20:21]
	v_add_f64 v[4:5], v[10:11], -v[4:5]
	;; [unrolled: 1-line block ×6, first 2 shown]
	v_fma_f64 v[6:7], v[8:9], 2.0, -v[2:3]
	v_fma_f64 v[8:9], v[10:11], 2.0, -v[4:5]
	;; [unrolled: 1-line block ×6, first 2 shown]
	v_and_b32_e32 v11, 0xffff, v14
	v_mad_u16 v10, v28, 14, v55
	v_mad_u32_u24 v11, v11, 14, v57
	v_mul_u32_u24_sdwa v10, v10, v47 dst_sel:DWORD dst_unused:UNUSED_PAD src0_sel:BYTE_0 src1_sel:DWORD
	v_mul_u32_u24_e32 v11, 0x180, v11
	v_add3_u32 v10, 0, v10, v34
	v_add3_u32 v11, 0, v11, v34
	ds_write_b128 v10, v[2:5] offset:2688
	ds_write_b128 v10, v[6:9]
	ds_write_b128 v12, v[16:19] offset:2688
	ds_write_b128 v12, v[24:27]
	ds_write_b128 v11, v[35:38]
	ds_write_b128 v11, v[20:23] offset:2688
	s_waitcnt lgkmcnt(0)
	s_barrier
	buffer_gl0_inv
	s_and_saveexec_b32 s1, s0
	s_cbranch_execz .LBB0_16
; %bb.15:
	v_lshrrev_b16 v1, 9, v1
	v_add_nc_u32_e32 v24, 0x2a00, v15
	v_add_nc_u32_e32 v41, 0x1500, v15
	s_lshl_b64 s[0:1], s[2:3], 4
	s_mov_b32 s3, 0xbfebb67a
	v_mul_lo_u16 v1, v1, 14
	s_add_u32 s0, s4, s0
	s_addc_u32 s1, s5, s1
	v_sub_nc_u16 v1, v33, v1
	v_and_b32_e32 v14, 0xff, v1
	v_mul_u32_u24_e32 v1, 5, v14
	v_mul_lo_u32 v28, v29, v14
	v_add_nc_u32_e32 v57, 0x46, v14
	v_add_nc_u32_e32 v69, 28, v14
	v_lshlrev_b32_e32 v20, 4, v1
	s_clause 0x4
	global_load_dwordx4 v[9:12], v20, s[16:17] offset:128
	global_load_dwordx4 v[5:8], v20, s[16:17] offset:160
	;; [unrolled: 1-line block ×5, first 2 shown]
	ds_read_b128 v[24:27], v24
	ds_read_b128 v[33:36], v15 offset:21504
	v_bfe_u32 v45, v28, 8, 8
	ds_read_b128 v[37:40], v15 offset:16128
	ds_read_b128 v[41:44], v41
	v_lshlrev_b32_sdwa v28, v13, v28 dst_sel:DWORD dst_unused:UNUSED_PAD src0_sel:DWORD src1_sel:BYTE_0
	v_mul_lo_u32 v73, v29, v69
	v_lshl_or_b32 v53, v45, 4, 0x1000
	ds_read_b128 v[45:48], v15 offset:26880
	s_clause 0x1
	global_load_dwordx4 v[49:52], v28, s[8:9]
	global_load_dwordx4 v[53:56], v53, s[8:9]
	v_add_nc_u32_e32 v28, 42, v14
	v_bfe_u32 v74, v73, 8, 8
	v_mul_lo_u32 v28, v29, v28
	s_waitcnt vmcnt(6) lgkmcnt(4)
	v_mul_f64 v[61:62], v[26:27], v[11:12]
	v_mul_f64 v[11:12], v[24:25], v[11:12]
	s_waitcnt vmcnt(5) lgkmcnt(3)
	v_mul_f64 v[63:64], v[35:36], v[7:8]
	v_mul_f64 v[65:66], v[33:34], v[7:8]
	v_mul_lo_u32 v7, v29, v57
	ds_read_b128 v[57:60], v15
	s_waitcnt vmcnt(4) lgkmcnt(3)
	v_mul_f64 v[67:68], v[39:40], v[3:4]
	v_add_nc_u32_e32 v8, 56, v14
	v_mul_f64 v[3:4], v[37:38], v[3:4]
	v_bfe_u32 v15, v7, 8, 8
	v_lshlrev_b32_sdwa v7, v13, v7 dst_sel:DWORD dst_unused:UNUSED_PAD src0_sel:DWORD src1_sel:BYTE_0
	v_mul_lo_u32 v70, v29, v8
	v_lshl_or_b32 v15, v15, 4, 0x1000
	v_fma_f64 v[61:62], v[24:25], v[9:10], -v[61:62]
	v_fma_f64 v[11:12], v[26:27], v[9:10], v[11:12]
	s_clause 0x1
	global_load_dwordx4 v[7:10], v7, s[8:9]
	global_load_dwordx4 v[24:27], v15, s[8:9]
	v_fma_f64 v[63:64], v[33:34], v[5:6], -v[63:64]
	v_fma_f64 v[5:6], v[35:36], v[5:6], v[65:66]
	s_waitcnt vmcnt(5) lgkmcnt(1)
	v_mul_f64 v[65:66], v[47:48], v[18:19]
	v_mul_f64 v[18:19], v[45:46], v[18:19]
	v_bfe_u32 v15, v70, 8, 8
	v_lshlrev_b32_sdwa v33, v13, v70 dst_sel:DWORD dst_unused:UNUSED_PAD src0_sel:DWORD src1_sel:BYTE_0
	s_waitcnt vmcnt(4)
	v_mul_f64 v[69:70], v[43:44], v[22:23]
	v_mul_f64 v[22:23], v[41:42], v[22:23]
	v_fma_f64 v[67:68], v[37:38], v[1:2], -v[67:68]
	v_lshl_or_b32 v15, v15, 4, 0x1000
	v_bfe_u32 v37, v28, 8, 8
	v_fma_f64 v[71:72], v[39:40], v[1:2], v[3:4]
	s_clause 0x1
	global_load_dwordx4 v[1:4], v33, s[8:9]
	global_load_dwordx4 v[33:36], v15, s[8:9]
	v_lshlrev_b32_sdwa v15, v13, v28 dst_sel:DWORD dst_unused:UNUSED_PAD src0_sel:DWORD src1_sel:BYTE_0
	v_lshl_or_b32 v28, v37, 4, 0x1000
	v_fma_f64 v[45:46], v[45:46], v[16:17], -v[65:66]
	v_fma_f64 v[47:48], v[47:48], v[16:17], v[18:19]
	s_clause 0x1
	global_load_dwordx4 v[15:18], v15, s[8:9]
	global_load_dwordx4 v[37:40], v28, s[8:9]
	v_lshlrev_b32_sdwa v19, v13, v73 dst_sel:DWORD dst_unused:UNUSED_PAD src0_sel:DWORD src1_sel:BYTE_0
	v_lshl_or_b32 v28, v74, 4, 0x1000
	v_fma_f64 v[65:66], v[41:42], v[20:21], -v[69:70]
	v_fma_f64 v[69:70], v[43:44], v[20:21], v[22:23]
	s_clause 0x1
	global_load_dwordx4 v[19:22], v19, s[8:9]
	global_load_dwordx4 v[41:44], v28, s[8:9]
	s_waitcnt vmcnt(8)
	v_mul_f64 v[73:74], v[51:52], v[55:56]
	v_mul_f64 v[55:56], v[49:50], v[55:56]
	v_mov_b32_e32 v28, 0x187
	v_mov_b32_e32 v23, v31
	v_mul_u32_u24_sdwa v0, v0, v28 dst_sel:DWORD dst_unused:UNUSED_PAD src0_sel:WORD_0 src1_sel:DWORD
	v_add_nc_u32_e32 v28, 14, v14
	v_lshrrev_b32_e32 v0, 17, v0
	v_mul_lo_u32 v75, v29, v28
	v_mul_lo_u16 v0, 0x54, v0
	v_fma_f64 v[49:50], v[49:50], v[53:54], -v[73:74]
	v_fma_f64 v[51:52], v[51:52], v[53:54], v[55:56]
	v_add_nc_u32_sdwa v73, v14, v0 dst_sel:DWORD dst_unused:UNUSED_PAD src0_sel:DWORD src1_sel:WORD_0
	v_add_nc_u32_e32 v74, 0x46, v73
	s_waitcnt vmcnt(6)
	v_mul_f64 v[53:54], v[9:10], v[26:27]
	v_mul_f64 v[26:27], v[7:8], v[26:27]
	v_mad_u64_u32 v[31:32], null, s15, v32, v[23:24]
	v_lshlrev_b64 v[30:31], 4, v[30:31]
	s_waitcnt vmcnt(4)
	v_mul_f64 v[55:56], v[3:4], v[35:36]
	v_mul_f64 v[35:36], v[1:2], v[35:36]
	v_add_co_u32 v80, vcc_lo, s0, v30
	v_add_co_ci_u32_e32 v81, vcc_lo, s1, v31, vcc_lo
	s_mov_b32 s0, 0xe8584caa
	s_mov_b32 s1, 0x3febb67a
	v_fma_f64 v[53:54], v[7:8], v[24:25], -v[53:54]
	v_fma_f64 v[8:9], v[9:10], v[24:25], v[26:27]
	v_mad_u64_u32 v[27:28], null, s12, v73, 0
	v_add_nc_u32_e32 v7, 14, v73
	s_waitcnt vmcnt(2)
	v_mul_f64 v[23:24], v[17:18], v[39:40]
	v_mul_f64 v[25:26], v[15:16], v[39:40]
	v_add_nc_u32_e32 v10, 28, v73
	s_mov_b32 s2, s0
	v_mov_b32_e32 v0, v28
	s_waitcnt vmcnt(0)
	v_mul_f64 v[29:30], v[21:22], v[43:44]
	v_mul_f64 v[31:32], v[19:20], v[43:44]
	v_mad_u64_u32 v[43:44], null, s12, v10, 0
	v_fma_f64 v[39:40], v[1:2], v[33:34], -v[55:56]
	v_add_nc_u32_e32 v55, 42, v73
	v_fma_f64 v[33:34], v[3:4], v[33:34], v[35:36]
	v_add_nc_u32_e32 v56, 56, v73
	v_mad_u64_u32 v[35:36], null, s12, v7, 0
	v_mad_u64_u32 v[0:1], null, s13, v73, v[0:1]
	v_mov_b32_e32 v2, v44
	v_fma_f64 v[14:15], v[15:16], v[37:38], -v[23:24]
	v_mad_u64_u32 v[23:24], null, s12, v55, 0
	v_fma_f64 v[16:17], v[17:18], v[37:38], v[25:26]
	v_mad_u64_u32 v[25:26], null, s12, v56, 0
	v_mad_u64_u32 v[37:38], null, s12, v74, 0
	v_mov_b32_e32 v1, v36
	v_mov_b32_e32 v3, v24
	v_fma_f64 v[18:19], v[19:20], v[41:42], -v[29:30]
	v_fma_f64 v[20:21], v[21:22], v[41:42], v[31:32]
	v_mov_b32_e32 v4, v26
	v_mad_u64_u32 v[29:30], null, s13, v7, v[1:2]
	v_mov_b32_e32 v1, v38
	v_mad_u64_u32 v[30:31], null, s13, v10, v[2:3]
	v_mad_u64_u32 v[31:32], null, s13, v55, v[3:4]
	;; [unrolled: 1-line block ×4, first 2 shown]
	v_add_f64 v[1:2], v[11:12], v[5:6]
	v_add_f64 v[3:4], v[61:62], v[63:64]
	s_waitcnt lgkmcnt(0)
	v_add_f64 v[73:74], v[59:60], v[11:12]
	v_mov_b32_e32 v28, v0
	v_add_f64 v[10:11], v[11:12], -v[5:6]
	v_bfe_u32 v12, v75, 8, 8
	v_lshlrev_b32_sdwa v22, v13, v75 dst_sel:DWORD dst_unused:UNUSED_PAD src0_sel:DWORD src1_sel:BYTE_0
	v_mov_b32_e32 v36, v29
	v_mov_b32_e32 v44, v30
	;; [unrolled: 1-line block ×3, first 2 shown]
	v_lshl_or_b32 v24, v12, 4, 0x1000
	v_mov_b32_e32 v38, v55
	v_lshlrev_b64 v[37:38], 4, v[37:38]
	v_fma_f64 v[0:1], v[1:2], -0.5, v[59:60]
	v_fma_f64 v[2:3], v[3:4], -0.5, v[57:58]
	v_add_f64 v[56:57], v[57:58], v[61:62]
	v_add_f64 v[58:59], v[71:72], v[47:48]
	v_add_f64 v[73:74], v[73:74], v[5:6]
	v_add_f64 v[4:5], v[67:68], v[45:46]
	v_add_f64 v[60:61], v[61:62], -v[63:64]
	v_add_f64 v[56:57], v[56:57], v[63:64]
	v_fma_f64 v[6:7], v[58:59], -0.5, v[69:70]
	v_add_f64 v[58:59], v[69:70], v[71:72]
	v_add_f64 v[69:70], v[71:72], -v[47:48]
	v_fma_f64 v[4:5], v[4:5], -0.5, v[65:66]
	v_add_f64 v[65:66], v[65:66], v[67:68]
	v_add_f64 v[67:68], v[67:68], -v[45:46]
	v_add_f64 v[47:48], v[58:59], v[47:48]
	v_fma_f64 v[58:59], v[60:61], s[0:1], v[0:1]
	v_fma_f64 v[62:63], v[69:70], s[0:1], v[4:5]
	;; [unrolled: 1-line block ×5, first 2 shown]
	v_add_f64 v[45:46], v[65:66], v[45:46]
	v_fma_f64 v[60:61], v[60:61], s[2:3], v[0:1]
	v_fma_f64 v[64:65], v[10:11], s[0:1], v[2:3]
	;; [unrolled: 1-line block ×3, first 2 shown]
	v_mul_f64 v[67:68], v[62:63], s[2:3]
	v_mul_f64 v[2:3], v[4:5], -0.5
	v_mul_f64 v[0:1], v[69:70], s[0:1]
	v_add_f64 v[29:30], v[56:57], -v[45:46]
	v_add_f64 v[45:46], v[56:57], v[45:46]
	v_add_f64 v[56:57], v[73:74], -v[47:48]
	v_add_f64 v[47:48], v[73:74], v[47:48]
	v_fma_f64 v[66:67], v[69:70], 0.5, v[67:68]
	v_mul_f64 v[68:69], v[6:7], -0.5
	v_fma_f64 v[12:13], v[62:63], 0.5, v[0:1]
	v_fma_f64 v[62:63], v[6:7], s[0:1], v[2:3]
	v_add_f64 v[72:73], v[60:61], v[66:67]
	v_fma_f64 v[68:69], v[4:5], s[2:3], v[68:69]
	s_clause 0x1
	global_load_dwordx4 v[0:3], v22, s[8:9]
	global_load_dwordx4 v[4:7], v24, s[8:9]
	v_add_f64 v[60:61], v[60:61], -v[66:67]
	v_add_f64 v[66:67], v[64:65], v[12:13]
	v_add_f64 v[64:65], v[64:65], -v[12:13]
	v_mov_b32_e32 v24, v31
	v_lshlrev_b64 v[31:32], 4, v[43:44]
	v_add_f64 v[12:13], v[58:59], v[68:69]
	v_add_f64 v[58:59], v[58:59], -v[68:69]
	v_add_f64 v[68:69], v[10:11], v[62:63]
	v_add_f64 v[62:63], v[10:11], -v[62:63]
	v_lshlrev_b64 v[10:11], 4, v[27:28]
	v_lshlrev_b64 v[27:28], 4, v[35:36]
	;; [unrolled: 1-line block ×4, first 2 shown]
	v_add_co_u32 v78, vcc_lo, v80, v10
	v_add_co_ci_u32_e32 v79, vcc_lo, v81, v11, vcc_lo
	v_add_co_u32 v26, vcc_lo, v80, v27
	v_add_co_ci_u32_e32 v27, vcc_lo, v81, v28, vcc_lo
	v_add_co_u32 v28, vcc_lo, v80, v31
	v_mul_f64 v[76:77], v[58:59], v[8:9]
	v_mul_f64 v[74:75], v[62:63], v[8:9]
	s_waitcnt vmcnt(0)
	v_mul_f64 v[70:71], v[0:1], v[6:7]
	v_mul_f64 v[6:7], v[2:3], v[6:7]
	v_fma_f64 v[2:3], v[2:3], v[4:5], v[70:71]
	v_fma_f64 v[22:23], v[0:1], v[4:5], -v[6:7]
	v_mul_f64 v[0:1], v[29:30], v[16:17]
	v_mul_f64 v[4:5], v[56:57], v[16:17]
	;; [unrolled: 1-line block ×10, first 2 shown]
	v_fma_f64 v[2:3], v[56:57], v[14:15], v[0:1]
	v_fma_f64 v[0:1], v[29:30], v[14:15], -v[4:5]
	v_fma_f64 v[6:7], v[47:48], v[49:50], v[6:7]
	v_fma_f64 v[4:5], v[45:46], v[49:50], -v[16:17]
	v_fma_f64 v[14:15], v[12:13], v[18:19], v[51:52]
	v_fma_f64 v[12:13], v[68:69], v[18:19], -v[20:21]
	v_fma_f64 v[18:19], v[60:61], v[39:40], v[70:71]
	v_fma_f64 v[16:17], v[64:65], v[39:40], -v[33:34]
	v_fma_f64 v[20:21], v[62:63], v[53:54], -v[76:77]
	v_add_co_ci_u32_e32 v29, vcc_lo, v81, v32, vcc_lo
	v_add_co_u32 v30, vcc_lo, v80, v35
	v_add_co_ci_u32_e32 v31, vcc_lo, v81, v36, vcc_lo
	v_add_co_u32 v24, vcc_lo, v80, v24
	;; [unrolled: 2-line block ×3, first 2 shown]
	v_fma_f64 v[10:11], v[72:73], v[22:23], v[41:42]
	v_fma_f64 v[8:9], v[66:67], v[22:23], -v[43:44]
	v_fma_f64 v[22:23], v[58:59], v[53:54], v[74:75]
	v_add_co_ci_u32_e32 v33, vcc_lo, v81, v38, vcc_lo
	global_store_dwordx4 v[78:79], v[4:7], off
	global_store_dwordx4 v[26:27], v[8:11], off
	;; [unrolled: 1-line block ×6, first 2 shown]
.LBB0_16:
	s_endpgm
	.section	.rodata,"a",@progbits
	.p2align	6, 0x0
	.amdhsa_kernel fft_rtc_fwd_len84_factors_7_2_6_wgs_336_tpt_14_dp_ip_CI_sbcc_twdbase8_2step_dirReg_intrinsicRead
		.amdhsa_group_segment_fixed_size 0
		.amdhsa_private_segment_fixed_size 0
		.amdhsa_kernarg_size 96
		.amdhsa_user_sgpr_count 6
		.amdhsa_user_sgpr_private_segment_buffer 1
		.amdhsa_user_sgpr_dispatch_ptr 0
		.amdhsa_user_sgpr_queue_ptr 0
		.amdhsa_user_sgpr_kernarg_segment_ptr 1
		.amdhsa_user_sgpr_dispatch_id 0
		.amdhsa_user_sgpr_flat_scratch_init 0
		.amdhsa_user_sgpr_private_segment_size 0
		.amdhsa_wavefront_size32 1
		.amdhsa_uses_dynamic_stack 0
		.amdhsa_system_sgpr_private_segment_wavefront_offset 0
		.amdhsa_system_sgpr_workgroup_id_x 1
		.amdhsa_system_sgpr_workgroup_id_y 0
		.amdhsa_system_sgpr_workgroup_id_z 0
		.amdhsa_system_sgpr_workgroup_info 0
		.amdhsa_system_vgpr_workitem_id 0
		.amdhsa_next_free_vgpr 82
		.amdhsa_next_free_sgpr 46
		.amdhsa_reserve_vcc 1
		.amdhsa_reserve_flat_scratch 0
		.amdhsa_float_round_mode_32 0
		.amdhsa_float_round_mode_16_64 0
		.amdhsa_float_denorm_mode_32 3
		.amdhsa_float_denorm_mode_16_64 3
		.amdhsa_dx10_clamp 1
		.amdhsa_ieee_mode 1
		.amdhsa_fp16_overflow 0
		.amdhsa_workgroup_processor_mode 1
		.amdhsa_memory_ordered 1
		.amdhsa_forward_progress 0
		.amdhsa_shared_vgpr_count 0
		.amdhsa_exception_fp_ieee_invalid_op 0
		.amdhsa_exception_fp_denorm_src 0
		.amdhsa_exception_fp_ieee_div_zero 0
		.amdhsa_exception_fp_ieee_overflow 0
		.amdhsa_exception_fp_ieee_underflow 0
		.amdhsa_exception_fp_ieee_inexact 0
		.amdhsa_exception_int_div_zero 0
	.end_amdhsa_kernel
	.text
.Lfunc_end0:
	.size	fft_rtc_fwd_len84_factors_7_2_6_wgs_336_tpt_14_dp_ip_CI_sbcc_twdbase8_2step_dirReg_intrinsicRead, .Lfunc_end0-fft_rtc_fwd_len84_factors_7_2_6_wgs_336_tpt_14_dp_ip_CI_sbcc_twdbase8_2step_dirReg_intrinsicRead
                                        ; -- End function
	.section	.AMDGPU.csdata,"",@progbits
; Kernel info:
; codeLenInByte = 5424
; NumSgprs: 48
; NumVgprs: 82
; ScratchSize: 0
; MemoryBound: 0
; FloatMode: 240
; IeeeMode: 1
; LDSByteSize: 0 bytes/workgroup (compile time only)
; SGPRBlocks: 5
; VGPRBlocks: 10
; NumSGPRsForWavesPerEU: 48
; NumVGPRsForWavesPerEU: 82
; Occupancy: 10
; WaveLimiterHint : 1
; COMPUTE_PGM_RSRC2:SCRATCH_EN: 0
; COMPUTE_PGM_RSRC2:USER_SGPR: 6
; COMPUTE_PGM_RSRC2:TRAP_HANDLER: 0
; COMPUTE_PGM_RSRC2:TGID_X_EN: 1
; COMPUTE_PGM_RSRC2:TGID_Y_EN: 0
; COMPUTE_PGM_RSRC2:TGID_Z_EN: 0
; COMPUTE_PGM_RSRC2:TIDIG_COMP_CNT: 0
	.text
	.p2alignl 6, 3214868480
	.fill 48, 4, 3214868480
	.type	__hip_cuid_827c119c1038723d,@object ; @__hip_cuid_827c119c1038723d
	.section	.bss,"aw",@nobits
	.globl	__hip_cuid_827c119c1038723d
__hip_cuid_827c119c1038723d:
	.byte	0                               ; 0x0
	.size	__hip_cuid_827c119c1038723d, 1

	.ident	"AMD clang version 19.0.0git (https://github.com/RadeonOpenCompute/llvm-project roc-6.4.0 25133 c7fe45cf4b819c5991fe208aaa96edf142730f1d)"
	.section	".note.GNU-stack","",@progbits
	.addrsig
	.addrsig_sym __hip_cuid_827c119c1038723d
	.amdgpu_metadata
---
amdhsa.kernels:
  - .args:
      - .actual_access:  read_only
        .address_space:  global
        .offset:         0
        .size:           8
        .value_kind:     global_buffer
      - .address_space:  global
        .offset:         8
        .size:           8
        .value_kind:     global_buffer
      - .offset:         16
        .size:           8
        .value_kind:     by_value
      - .actual_access:  read_only
        .address_space:  global
        .offset:         24
        .size:           8
        .value_kind:     global_buffer
      - .actual_access:  read_only
        .address_space:  global
        .offset:         32
        .size:           8
        .value_kind:     global_buffer
      - .offset:         40
        .size:           8
        .value_kind:     by_value
      - .actual_access:  read_only
        .address_space:  global
        .offset:         48
        .size:           8
        .value_kind:     global_buffer
      - .actual_access:  read_only
        .address_space:  global
        .offset:         56
        .size:           8
        .value_kind:     global_buffer
      - .offset:         64
        .size:           4
        .value_kind:     by_value
      - .actual_access:  read_only
        .address_space:  global
        .offset:         72
        .size:           8
        .value_kind:     global_buffer
      - .actual_access:  read_only
        .address_space:  global
        .offset:         80
        .size:           8
        .value_kind:     global_buffer
      - .address_space:  global
        .offset:         88
        .size:           8
        .value_kind:     global_buffer
    .group_segment_fixed_size: 0
    .kernarg_segment_align: 8
    .kernarg_segment_size: 96
    .language:       OpenCL C
    .language_version:
      - 2
      - 0
    .max_flat_workgroup_size: 336
    .name:           fft_rtc_fwd_len84_factors_7_2_6_wgs_336_tpt_14_dp_ip_CI_sbcc_twdbase8_2step_dirReg_intrinsicRead
    .private_segment_fixed_size: 0
    .sgpr_count:     48
    .sgpr_spill_count: 0
    .symbol:         fft_rtc_fwd_len84_factors_7_2_6_wgs_336_tpt_14_dp_ip_CI_sbcc_twdbase8_2step_dirReg_intrinsicRead.kd
    .uniform_work_group_size: 1
    .uses_dynamic_stack: false
    .vgpr_count:     82
    .vgpr_spill_count: 0
    .wavefront_size: 32
    .workgroup_processor_mode: 1
amdhsa.target:   amdgcn-amd-amdhsa--gfx1030
amdhsa.version:
  - 1
  - 2
...

	.end_amdgpu_metadata
